;; amdgpu-corpus repo=zjin-lcf/HeCBench kind=compiled arch=gfx1250 opt=O3
	.amdgcn_target "amdgcn-amd-amdhsa--gfx1250"
	.amdhsa_code_object_version 6
	.text
	.protected	_Z14md5hash_kernelPiPhPjiiijjjj ; -- Begin function _Z14md5hash_kernelPiPhPjiiijjjj
	.globl	_Z14md5hash_kernelPiPhPjiiijjjj
	.p2align	8
	.type	_Z14md5hash_kernelPiPhPjiiijjjj,@function
_Z14md5hash_kernelPiPhPjiiijjjj:        ; @_Z14md5hash_kernelPiPhPjiiijjjj
; %bb.0:
	s_clause 0x1
	s_load_b128 s[8:11], s[0:1], 0x18
	s_load_b32 s2, s[0:1], 0x44
	s_bfe_u32 s3, ttmp6, 0x4000c
	s_and_b32 s4, ttmp6, 15
	s_add_co_i32 s3, s3, 1
	s_getreg_b32 s5, hwreg(HW_REG_IB_STS2, 6, 4)
	s_mul_i32 s3, ttmp9, s3
	s_mov_b32 s19, 0
	s_add_co_i32 s4, s4, s3
	s_wait_kmcnt 0x0
	s_cvt_f32_u32 s6, s10
	s_and_b32 s2, s2, 0xffff
	s_cmp_eq_u32 s5, 0
	s_delay_alu instid0(SALU_CYCLE_1) | instskip(SKIP_1) | instid1(SALU_CYCLE_1)
	v_rcp_iflag_f32_e32 v1, s6
	s_cselect_b32 s3, ttmp9, s4
	v_mad_u32 v0, s3, s2, v0
	s_sub_co_i32 s3, 0, s10
	s_delay_alu instid0(TRANS32_DEP_1) | instskip(SKIP_2) | instid1(SALU_CYCLE_2)
	v_readfirstlane_b32 s2, v1
	s_mul_f32 s2, s2, 0x4f7ffffe
	v_mul_lo_u32 v4, v0, s10
	s_cvt_u32_f32 s2, s2
	s_delay_alu instid0(SALU_CYCLE_3) | instskip(NEXT) | instid1(SALU_CYCLE_1)
	s_mul_i32 s3, s3, s2
	s_mul_hi_u32 s3, s2, s3
	s_delay_alu instid0(SALU_CYCLE_1) | instskip(SKIP_1) | instid1(VALU_DEP_1)
	s_add_co_i32 s18, s2, s3
	s_cmp_lt_i32 s10, 1
	v_mul_hi_u32 v0, v4, s18
	s_delay_alu instid0(VALU_DEP_1) | instskip(NEXT) | instid1(VALU_DEP_1)
	v_mul_lo_u32 v1, v0, s10
	v_dual_add_nc_u32 v2, 1, v0 :: v_dual_sub_nc_u32 v1, v4, v1
	s_delay_alu instid0(VALU_DEP_1) | instskip(SKIP_1) | instid1(VALU_DEP_2)
	v_subrev_nc_u32_e32 v3, s10, v1
	v_cmp_le_u32_e32 vcc_lo, s10, v1
	v_dual_cndmask_b32 v0, v0, v2 :: v_dual_cndmask_b32 v1, v1, v3
	s_delay_alu instid0(VALU_DEP_1) | instskip(NEXT) | instid1(VALU_DEP_2)
	v_add_nc_u32_e32 v2, 1, v0
	v_cmp_le_u32_e32 vcc_lo, s10, v1
	s_delay_alu instid0(VALU_DEP_2) | instskip(NEXT) | instid1(VALU_DEP_1)
	v_cndmask_b32_e32 v2, v0, v2, vcc_lo
	v_mul_hi_u32 v0, v2, s18
	s_delay_alu instid0(VALU_DEP_1) | instskip(NEXT) | instid1(VALU_DEP_1)
	v_mul_lo_u32 v1, v0, s10
	v_dual_add_nc_u32 v3, 1, v0 :: v_dual_sub_nc_u32 v1, v2, v1
	s_delay_alu instid0(VALU_DEP_1) | instskip(SKIP_1) | instid1(VALU_DEP_2)
	v_subrev_nc_u32_e32 v5, s10, v1
	v_cmp_le_u32_e32 vcc_lo, s10, v1
	v_dual_cndmask_b32 v0, v0, v3 :: v_dual_cndmask_b32 v3, v1, v5
	s_delay_alu instid0(VALU_DEP_1) | instskip(NEXT) | instid1(VALU_DEP_2)
	v_add_nc_u32_e32 v1, 1, v0
	v_cmp_le_u32_e32 vcc_lo, s10, v3
	s_delay_alu instid0(VALU_DEP_2) | instskip(NEXT) | instid1(VALU_DEP_1)
	v_cndmask_b32_e32 v0, v0, v1, vcc_lo
	v_mul_hi_u32 v1, v0, s18
	s_delay_alu instid0(VALU_DEP_1) | instskip(NEXT) | instid1(VALU_DEP_1)
	v_mul_lo_u32 v5, v1, s10
	v_sub_nc_u32_e32 v0, v0, v5
	v_add_nc_u32_e32 v5, 1, v1
	s_delay_alu instid0(VALU_DEP_2) | instskip(NEXT) | instid1(VALU_DEP_1)
	v_cmp_le_u32_e64 s2, s10, v0
	v_cndmask_b32_e64 v1, v1, v5, s2
	v_subrev_nc_u32_e32 v6, s10, v0
	s_delay_alu instid0(VALU_DEP_1) | instskip(NEXT) | instid1(VALU_DEP_1)
	v_dual_cndmask_b32 v5, v0, v6, s2 :: v_dual_add_nc_u32 v0, 1, v1
	v_cmp_le_u32_e64 s2, s10, v5
	s_delay_alu instid0(VALU_DEP_1) | instskip(NEXT) | instid1(VALU_DEP_1)
	v_cndmask_b32_e64 v0, v1, v0, s2
	v_mul_hi_u32 v1, v0, s18
	s_delay_alu instid0(VALU_DEP_1) | instskip(NEXT) | instid1(VALU_DEP_1)
	v_mul_lo_u32 v6, v1, s10
	v_dual_sub_nc_u32 v0, v0, v6 :: v_dual_add_nc_u32 v6, 1, v1
	s_delay_alu instid0(VALU_DEP_1) | instskip(SKIP_1) | instid1(VALU_DEP_1)
	v_subrev_nc_u32_e32 v7, s10, v0
	v_cmp_le_u32_e64 s3, s10, v0
	v_dual_cndmask_b32 v1, v1, v6, s3 :: v_dual_cndmask_b32 v6, v0, v7, s3
	s_delay_alu instid0(VALU_DEP_1) | instskip(NEXT) | instid1(VALU_DEP_2)
	v_add_nc_u32_e32 v0, 1, v1
	v_cmp_le_u32_e64 s3, s10, v6
	s_delay_alu instid0(VALU_DEP_1) | instskip(NEXT) | instid1(VALU_DEP_1)
	v_cndmask_b32_e64 v0, v1, v0, s3
	v_mul_hi_u32 v1, v0, s18
	s_delay_alu instid0(VALU_DEP_1) | instskip(NEXT) | instid1(VALU_DEP_1)
	v_mul_lo_u32 v7, v1, s10
	v_dual_sub_nc_u32 v0, v0, v7 :: v_dual_add_nc_u32 v7, 1, v1
	s_delay_alu instid0(VALU_DEP_1) | instskip(SKIP_1) | instid1(VALU_DEP_1)
	v_subrev_nc_u32_e32 v8, s10, v0
	v_cmp_le_u32_e64 s4, s10, v0
	v_dual_cndmask_b32 v8, v0, v8, s4 :: v_dual_cndmask_b32 v0, v1, v7, s4
	s_delay_alu instid0(VALU_DEP_1) | instskip(NEXT) | instid1(VALU_DEP_2)
	v_cmp_le_u32_e64 s4, s10, v8
	v_add_nc_u32_e32 v1, 1, v0
	s_delay_alu instid0(VALU_DEP_1) | instskip(NEXT) | instid1(VALU_DEP_1)
	v_cndmask_b32_e64 v7, v0, v1, s4
	v_mul_hi_u32 v0, v7, s18
	s_delay_alu instid0(VALU_DEP_1) | instskip(NEXT) | instid1(VALU_DEP_1)
	v_mul_lo_u32 v1, v0, s10
	v_dual_add_nc_u32 v9, 1, v0 :: v_dual_sub_nc_u32 v1, v7, v1
	s_delay_alu instid0(VALU_DEP_1) | instskip(SKIP_1) | instid1(VALU_DEP_1)
	v_subrev_nc_u32_e32 v10, s10, v1
	v_cmp_le_u32_e64 s5, s10, v1
	v_dual_cndmask_b32 v0, v0, v9, s5 :: v_dual_cndmask_b32 v1, v1, v10, s5
	s_delay_alu instid0(VALU_DEP_1) | instskip(NEXT) | instid1(VALU_DEP_2)
	v_add_nc_u32_e32 v9, 1, v0
	v_cmp_le_u32_e64 s5, s10, v1
	s_delay_alu instid0(VALU_DEP_1) | instskip(NEXT) | instid1(VALU_DEP_1)
	v_cndmask_b32_e64 v9, v0, v9, s5
	v_mul_hi_u32 v0, v9, s18
	s_delay_alu instid0(VALU_DEP_1) | instskip(NEXT) | instid1(VALU_DEP_1)
	v_mul_lo_u32 v1, v0, s10
	v_sub_nc_u32_e32 v1, v9, v1
	s_delay_alu instid0(VALU_DEP_1) | instskip(SKIP_1) | instid1(VALU_DEP_1)
	v_subrev_nc_u32_e32 v10, s10, v1
	v_cmp_le_u32_e64 s6, s10, v1
	v_cndmask_b32_e64 v1, v1, v10, s6
	s_delay_alu instid0(VALU_DEP_1)
	v_cmp_le_u32_e64 s5, s10, v1
	s_cbranch_scc1 .LBB0_37
; %bb.1:
	v_add_nc_u32_e32 v1, 1, v0
	v_subrev_nc_u32_e32 v12, s10, v5
	v_subrev_nc_u32_e32 v14, s10, v8
	v_mul_lo_u32 v15, v9, s10
	v_subrev_nc_u32_e32 v13, s10, v6
	v_dual_cndmask_b32 v0, v0, v1, s6 :: v_dual_mov_b32 v1, 0
	s_delay_alu instid0(VALU_DEP_4) | instskip(SKIP_1) | instid1(VALU_DEP_3)
	v_cndmask_b32_e64 v8, v8, v14, s4
	v_mul_lo_u32 v2, v2, s10
	v_dual_cndmask_b32 v6, v6, v13, s3 :: v_dual_add_nc_u32 v10, 1, v0
	s_lshl_b32 s20, s9, 3
	s_delay_alu instid0(VALU_DEP_3)
	v_lshlrev_b16 v13, 8, v8
	s_add_co_i32 s3, s20, 0xc33707d6
	s_add_co_i32 s4, s20, 0xfde5380c
	v_dual_cndmask_b32 v0, v0, v10, s5 :: v_dual_cndmask_b32 v5, v5, v12, s2
	s_add_co_i32 s5, s20, 0xa679438e
	s_add_co_i32 s20, s20, 0xab9423a7
	s_mov_b32 s21, 0xbcdb4dd9
	s_delay_alu instid0(VALU_DEP_1)
	v_mul_u64_e32 v[10:11], s[18:19], v[0:1]
	v_lshlrev_b16 v12, 8, v5
	s_clause 0x2
	s_load_b128 s[12:15], s[0:1], 0x0
	s_load_b64 s[6:7], s[0:1], 0x10
	s_load_b96 s[16:18], s[0:1], 0x28
                                        ; implicit-def: $sgpr22
	v_lshlrev_b32_e32 v5, 16, v5
	s_delay_alu instid0(VALU_DEP_3) | instskip(SKIP_1) | instid1(VALU_DEP_1)
	v_mul_lo_u32 v10, v11, s10
	v_subrev_nc_u32_e32 v11, s10, v3
	v_dual_cndmask_b32 v3, v3, v11 :: v_dual_sub_nc_u32 v10, v0, v10
	v_mul_lo_u32 v0, v0, s10
	s_delay_alu instid0(VALU_DEP_2) | instskip(SKIP_1) | instid1(VALU_DEP_2)
	v_subrev_nc_u32_e32 v11, s10, v10
	v_cmp_le_u32_e32 vcc_lo, s10, v10
	v_cndmask_b32_e32 v10, v10, v11, vcc_lo
	s_delay_alu instid0(VALU_DEP_4) | instskip(SKIP_2) | instid1(VALU_DEP_4)
	v_dual_sub_nc_u32 v11, v7, v15 :: v_dual_sub_nc_u32 v9, v9, v0
	v_bitop3_b16 v0, v3, v12, 0xff bitop3:0xec
	v_bitop3_b16 v12, v6, v13, 0xff bitop3:0xec
	v_subrev_nc_u32_e32 v7, s10, v10
	v_cmp_le_u32_e32 vcc_lo, s10, v10
	v_dual_lshlrev_b32 v13, 8, v11 :: v_dual_lshlrev_b32 v14, 16, v9
	v_and_b32_e32 v0, 0xffff, v0
	s_delay_alu instid0(VALU_DEP_4)
	v_cndmask_b32_e32 v10, v10, v7, vcc_lo
	v_and_b32_e32 v7, 0xff, v8
	v_lshlrev_b32_e32 v8, 16, v12
	v_and_b32_e32 v12, 0xff00, v13
	v_lshlrev_b32_e32 v3, 8, v3
	v_perm_b32 v13, v10, v14, 0x4020c0c
	v_perm_b32 v14, v6, v5, 0x4020c0c
	v_or_b32_e32 v0, v0, v8
	v_sub_nc_u32_e32 v6, v4, v2
	s_delay_alu instid0(VALU_DEP_4) | instskip(NEXT) | instid1(VALU_DEP_4)
	v_or3_b32 v5, v13, v12, v7
	v_and_or_b32 v7, 0xff00, v3, v14
	s_delay_alu instid0(VALU_DEP_4) | instskip(SKIP_1) | instid1(VALU_DEP_4)
	v_perm_b32 v2, v0, v11, 0xc0c0007
	v_perm_b32 v3, v9, v10, 0xc0c0004
	v_or_b32_e32 v8, 0x80000000, v5
	v_or_b32_e32 v9, 0x800000, v5
	;; [unrolled: 1-line block ×4, first 2 shown]
	v_lshl_or_b32 v3, v3, 16, v2
	s_branch .LBB0_4
.LBB0_2:                                ;   in Loop: Header=BB0_4 Depth=1
	s_wait_xcnt 0x0
	s_or_b32 exec_lo, exec_lo, s0
	s_add_co_i32 s10, s10, -1
	v_add_nc_u16 v6, v6, 1
	s_cmp_eq_u32 s10, 0
	v_add_nc_u32_e32 v4, 1, v4
	s_cselect_b32 s0, -1, 0
	s_and_not1_b32 s1, s22, exec_lo
	s_and_b32 s0, s0, exec_lo
	s_delay_alu instid0(SALU_CYCLE_1)
	s_or_b32 s22, s1, s0
.LBB0_3:                                ;   in Loop: Header=BB0_4 Depth=1
	s_or_b32 exec_lo, exec_lo, s23
	s_wait_xcnt 0x0
	s_and_b32 s0, exec_lo, s22
	s_delay_alu instid0(SALU_CYCLE_1) | instskip(NEXT) | instid1(SALU_CYCLE_1)
	s_or_b32 s19, s0, s19
	s_and_not1_b32 exec_lo, exec_lo, s19
	s_cbranch_execz .LBB0_37
.LBB0_4:                                ; =>This Inner Loop Header: Depth=1
	s_or_b32 s22, s22, exec_lo
	s_mov_b32 s23, exec_lo
	v_cmpx_gt_i32_e64 s8, v4
	s_cbranch_execz .LBB0_3
; %bb.5:                                ;   in Loop: Header=BB0_4 Depth=1
	s_cmp_lt_i32 s9, 4
	s_wait_xcnt 0x0
	s_mov_b32 s0, -1
                                        ; implicit-def: $vgpr2
	s_cbranch_scc1 .LBB0_20
; %bb.6:                                ;   in Loop: Header=BB0_4 Depth=1
	s_cmp_lt_i32 s9, 6
                                        ; implicit-def: $vgpr2
	s_cbranch_scc1 .LBB0_14
; %bb.7:                                ;   in Loop: Header=BB0_4 Depth=1
	s_cmp_lt_i32 s9, 7
                                        ; implicit-def: $vgpr2
	s_cbranch_scc1 .LBB0_11
; %bb.8:                                ;   in Loop: Header=BB0_4 Depth=1
	v_mov_b32_e32 v2, v5
	s_cmp_eq_u32 s9, 7
	s_cbranch_scc0 .LBB0_10
; %bb.9:                                ;   in Loop: Header=BB0_4 Depth=1
	v_mov_b32_e32 v2, v8
.LBB0_10:                               ;   in Loop: Header=BB0_4 Depth=1
	s_mov_b32 s0, 0
.LBB0_11:                               ;   in Loop: Header=BB0_4 Depth=1
	s_delay_alu instid0(SALU_CYCLE_1)
	s_and_not1_b32 vcc_lo, exec_lo, s0
	s_cbranch_vccnz .LBB0_13
; %bb.12:                               ;   in Loop: Header=BB0_4 Depth=1
	v_mov_b32_e32 v2, v9
.LBB0_13:                               ;   in Loop: Header=BB0_4 Depth=1
	s_mov_b32 s0, 0
.LBB0_14:                               ;   in Loop: Header=BB0_4 Depth=1
	s_delay_alu instid0(SALU_CYCLE_1)
	s_and_not1_b32 vcc_lo, exec_lo, s0
	s_cbranch_vccnz .LBB0_19
; %bb.15:                               ;   in Loop: Header=BB0_4 Depth=1
	s_cmp_gt_i32 s9, 4
	s_mov_b32 s0, -1
	s_cbranch_scc0 .LBB0_17
; %bb.16:                               ;   in Loop: Header=BB0_4 Depth=1
	s_mov_b32 s0, 0
.LBB0_17:                               ;   in Loop: Header=BB0_4 Depth=1
	v_mov_b32_e32 v2, v10
	s_and_not1_b32 vcc_lo, exec_lo, s0
	s_cbranch_vccnz .LBB0_19
; %bb.18:                               ;   in Loop: Header=BB0_4 Depth=1
	v_mov_b32_e32 v2, v11
.LBB0_19:                               ;   in Loop: Header=BB0_4 Depth=1
	s_mov_b32 s0, 0
.LBB0_20:                               ;   in Loop: Header=BB0_4 Depth=1
	v_and_or_b32 v12, 0xff, v6, v7
	s_and_not1_b32 vcc_lo, exec_lo, s0
	s_cbranch_vccnz .LBB0_35
; %bb.21:                               ;   in Loop: Header=BB0_4 Depth=1
	s_cmp_lt_i32 s9, 2
	s_mov_b32 s0, -1
                                        ; implicit-def: $vgpr13
	s_cbranch_scc1 .LBB0_27
; %bb.22:                               ;   in Loop: Header=BB0_4 Depth=1
	s_cmp_gt_i32 s9, 2
                                        ; implicit-def: $vgpr13
	s_cbranch_scc0 .LBB0_24
; %bb.23:                               ;   in Loop: Header=BB0_4 Depth=1
	v_or_b32_e32 v13, 0x80000000, v12
	s_mov_b32 s0, 0
.LBB0_24:                               ;   in Loop: Header=BB0_4 Depth=1
	s_delay_alu instid0(SALU_CYCLE_1)
	s_and_not1_b32 vcc_lo, exec_lo, s0
	s_cbranch_vccnz .LBB0_26
; %bb.25:                               ;   in Loop: Header=BB0_4 Depth=1
	v_or_b32_e32 v13, 0x800000, v12
.LBB0_26:                               ;   in Loop: Header=BB0_4 Depth=1
	s_mov_b32 s0, 0
.LBB0_27:                               ;   in Loop: Header=BB0_4 Depth=1
	s_delay_alu instid0(SALU_CYCLE_1)
	s_and_not1_b32 vcc_lo, exec_lo, s0
	s_cbranch_vccnz .LBB0_34
; %bb.28:                               ;   in Loop: Header=BB0_4 Depth=1
	s_cmp_gt_i32 s9, 0
	s_mov_b32 s0, -1
                                        ; implicit-def: $vgpr13
	s_cbranch_scc0 .LBB0_30
; %bb.29:                               ;   in Loop: Header=BB0_4 Depth=1
	v_or_b32_e32 v13, 0x8000, v12
	s_mov_b32 s0, 0
.LBB0_30:                               ;   in Loop: Header=BB0_4 Depth=1
	s_delay_alu instid0(SALU_CYCLE_1)
	s_and_not1_b32 vcc_lo, exec_lo, s0
	s_cbranch_vccnz .LBB0_34
; %bb.31:                               ;   in Loop: Header=BB0_4 Depth=1
	s_cmp_lg_u32 s9, 0
	s_cbranch_scc1 .LBB0_33
; %bb.32:                               ;   in Loop: Header=BB0_4 Depth=1
	v_or_b32_e32 v12, 0x80, v12
.LBB0_33:                               ;   in Loop: Header=BB0_4 Depth=1
	s_delay_alu instid0(VALU_DEP_1)
	v_mov_b32_e32 v13, v12
.LBB0_34:                               ;   in Loop: Header=BB0_4 Depth=1
	s_delay_alu instid0(VALU_DEP_1)
	v_dual_mov_b32 v2, v5 :: v_dual_mov_b32 v12, v13
.LBB0_35:                               ;   in Loop: Header=BB0_4 Depth=1
	s_delay_alu instid0(VALU_DEP_1) | instskip(NEXT) | instid1(VALU_DEP_1)
	v_add_nc_u32_e32 v13, 0xd76aa477, v12
	v_alignbit_b32 v13, v13, v13, 25
	s_delay_alu instid0(VALU_DEP_1) | instskip(SKIP_1) | instid1(VALU_DEP_2)
	v_sub_nc_u32_e32 v14, 0x10325476, v13
	v_add_nc_u32_e32 v15, 0xefcdab89, v13
	v_and_b32_e32 v14, 0x98badcfe, v14
	s_delay_alu instid0(VALU_DEP_1) | instskip(NEXT) | instid1(VALU_DEP_1)
	v_and_or_b32 v14, 0xefcdab89, v15, v14
	v_add3_u32 v14, v2, v14, 0xf8fa0bcc
	s_delay_alu instid0(VALU_DEP_1) | instskip(NEXT) | instid1(VALU_DEP_1)
	v_alignbit_b32 v14, v14, v14, 20
	v_add_nc_u32_e32 v14, v14, v15
	s_delay_alu instid0(VALU_DEP_1) | instskip(NEXT) | instid1(VALU_DEP_1)
	v_bitop3_b32 v16, v15, v14, 0xefcdab89 bitop3:0x48
	v_xad_u32 v16, 0xefcdab89, v16, s21
	s_delay_alu instid0(VALU_DEP_1) | instskip(NEXT) | instid1(VALU_DEP_1)
	v_alignbit_b32 v16, v16, v16, 15
	v_add_nc_u32_e32 v16, v16, v14
	s_delay_alu instid0(VALU_DEP_1) | instskip(NEXT) | instid1(VALU_DEP_1)
	v_bitop3_b32 v17, v14, v16, v15 bitop3:0x48
	v_xad_u32 v15, v17, v15, 0xb18b7a77
	s_delay_alu instid0(VALU_DEP_1) | instskip(NEXT) | instid1(VALU_DEP_1)
	v_alignbit_b32 v15, v15, v15, 10
	v_add_nc_u32_e32 v15, v15, v16
	s_delay_alu instid0(VALU_DEP_1) | instskip(NEXT) | instid1(VALU_DEP_1)
	v_bitop3_b32 v17, v16, v14, v15 bitop3:0xe4
	v_add3_u32 v13, v13, v17, 0xe549bb38
	s_delay_alu instid0(VALU_DEP_1) | instskip(NEXT) | instid1(VALU_DEP_1)
	v_alignbit_b32 v13, v13, v13, 25
	v_add_nc_u32_e32 v13, v13, v15
	s_delay_alu instid0(VALU_DEP_1) | instskip(NEXT) | instid1(VALU_DEP_1)
	v_bitop3_b32 v17, v15, v16, v13 bitop3:0xe4
	v_add3_u32 v14, v14, v17, 0x4787c62a
	;; [unrolled: 6-line block ×10, first 2 shown]
	s_delay_alu instid0(VALU_DEP_1) | instskip(NEXT) | instid1(VALU_DEP_1)
	v_alignbit_b32 v14, v14, v14, 20
	v_add_nc_u32_e32 v14, v14, v13
	s_delay_alu instid0(VALU_DEP_1) | instskip(NEXT) | instid1(VALU_DEP_1)
	v_bfi_b32 v17, v14, v13, v15
	v_add3_u32 v16, s5, v16, v17
	s_delay_alu instid0(VALU_DEP_1) | instskip(NEXT) | instid1(VALU_DEP_1)
	v_alignbit_b32 v16, v16, v16, 15
	v_add_nc_u32_e32 v16, v16, v14
	s_delay_alu instid0(VALU_DEP_1) | instskip(SKIP_1) | instid1(VALU_DEP_2)
	v_bfi_b32 v17, v16, v14, v13
	v_add_nc_u32_e32 v13, v2, v13
	v_add3_u32 v15, v15, v17, 0x49b40821
	s_delay_alu instid0(VALU_DEP_1) | instskip(NEXT) | instid1(VALU_DEP_1)
	v_alignbit_b32 v15, v15, v15, 10
	v_add_nc_u32_e32 v15, v15, v16
	s_delay_alu instid0(VALU_DEP_1) | instskip(NEXT) | instid1(VALU_DEP_1)
	v_bfi_b32 v17, v14, v15, v16
	v_add3_u32 v13, v13, v17, 0xf61e2562
	s_delay_alu instid0(VALU_DEP_1) | instskip(NEXT) | instid1(VALU_DEP_1)
	v_alignbit_b32 v13, v13, v13, 27
	v_add_nc_u32_e32 v13, v13, v15
	s_delay_alu instid0(VALU_DEP_1) | instskip(NEXT) | instid1(VALU_DEP_1)
	v_bfi_b32 v17, v16, v13, v15
	v_add3_u32 v14, v14, v17, 0xc040b340
	s_delay_alu instid0(VALU_DEP_1) | instskip(NEXT) | instid1(VALU_DEP_1)
	v_alignbit_b32 v14, v14, v14, 23
	v_add_nc_u32_e32 v14, v14, v13
	s_delay_alu instid0(VALU_DEP_1) | instskip(SKIP_1) | instid1(VALU_DEP_2)
	v_bitop3_b32 v17, v14, v13, v15 bitop3:0xe4
	v_add_nc_u32_e32 v15, v12, v15
	v_add3_u32 v16, v16, v17, 0x265e5a51
	s_delay_alu instid0(VALU_DEP_1) | instskip(NEXT) | instid1(VALU_DEP_1)
	v_alignbit_b32 v16, v16, v16, 18
	v_add_nc_u32_e32 v16, v16, v14
	s_delay_alu instid0(VALU_DEP_1) | instskip(NEXT) | instid1(VALU_DEP_1)
	v_bitop3_b32 v17, v16, v14, v13 bitop3:0xe4
	v_add3_u32 v15, v15, v17, 0xe9b6c7aa
	s_delay_alu instid0(VALU_DEP_1) | instskip(NEXT) | instid1(VALU_DEP_1)
	v_alignbit_b32 v15, v15, v15, 12
	v_add_nc_u32_e32 v15, v15, v16
	s_delay_alu instid0(VALU_DEP_1) | instskip(NEXT) | instid1(VALU_DEP_1)
	v_bitop3_b32 v17, v15, v16, v14 bitop3:0xe4
	;; [unrolled: 6-line block ×13, first 2 shown]
	v_add3_u32 v15, v15, v17, 0x8d2a4c8a
	s_delay_alu instid0(VALU_DEP_1) | instskip(NEXT) | instid1(VALU_DEP_1)
	v_alignbit_b32 v15, v15, v15, 12
	v_add_nc_u32_e32 v15, v15, v16
	s_delay_alu instid0(VALU_DEP_1) | instskip(NEXT) | instid1(VALU_DEP_1)
	v_xor_b32_e32 v17, v15, v16
	v_xor_b32_e32 v18, v17, v14
	s_delay_alu instid0(VALU_DEP_1) | instskip(NEXT) | instid1(VALU_DEP_1)
	v_add3_u32 v13, v13, v18, 0xfffa3942
	v_alignbit_b32 v13, v13, v13, 28
	s_delay_alu instid0(VALU_DEP_1) | instskip(NEXT) | instid1(VALU_DEP_1)
	v_add_nc_u32_e32 v13, v13, v15
	v_xor_b32_e32 v17, v13, v17
	s_delay_alu instid0(VALU_DEP_1) | instskip(NEXT) | instid1(VALU_DEP_1)
	v_add3_u32 v14, v14, v17, 0x8771f681
	v_alignbit_b32 v14, v14, v14, 21
	s_delay_alu instid0(VALU_DEP_1) | instskip(NEXT) | instid1(VALU_DEP_1)
	v_add_nc_u32_e32 v14, v14, v13
	v_xor_b32_e32 v17, v14, v13
	s_delay_alu instid0(VALU_DEP_1) | instskip(NEXT) | instid1(VALU_DEP_1)
	v_dual_add_nc_u32 v13, v2, v13 :: v_dual_bitop2_b32 v18, v17, v15 bitop3:0x14
	v_add3_u32 v16, v16, v18, 0x6d9d6122
	s_delay_alu instid0(VALU_DEP_1) | instskip(NEXT) | instid1(VALU_DEP_1)
	v_alignbit_b32 v16, v16, v16, 16
	v_add_nc_u32_e32 v16, v16, v14
	s_delay_alu instid0(VALU_DEP_1) | instskip(NEXT) | instid1(VALU_DEP_1)
	v_xor_b32_e32 v17, v17, v16
	v_add3_u32 v15, s4, v15, v17
	s_delay_alu instid0(VALU_DEP_1) | instskip(NEXT) | instid1(VALU_DEP_1)
	v_alignbit_b32 v15, v15, v15, 9
	v_add_nc_u32_e32 v15, v15, v16
	s_delay_alu instid0(VALU_DEP_1) | instskip(NEXT) | instid1(VALU_DEP_1)
	v_xor3_b32 v17, v16, v14, v15
	v_add3_u32 v13, v13, v17, 0xa4beea44
	s_delay_alu instid0(VALU_DEP_1) | instskip(NEXT) | instid1(VALU_DEP_1)
	v_alignbit_b32 v13, v13, v13, 28
	v_add_nc_u32_e32 v13, v13, v15
	s_delay_alu instid0(VALU_DEP_1) | instskip(NEXT) | instid1(VALU_DEP_1)
	v_xor3_b32 v17, v15, v16, v13
	;; [unrolled: 6-line block ×4, first 2 shown]
	v_add3_u32 v15, v15, v17, 0xbebfbc70
	s_delay_alu instid0(VALU_DEP_1) | instskip(NEXT) | instid1(VALU_DEP_1)
	v_alignbit_b32 v15, v15, v15, 9
	v_add_nc_u32_e32 v15, v15, v16
	s_delay_alu instid0(VALU_DEP_1) | instskip(SKIP_1) | instid1(VALU_DEP_2)
	v_xor3_b32 v17, v16, v14, v15
	v_add_nc_u32_e32 v14, v12, v14
	v_add3_u32 v13, v13, v17, 0x289b7ec6
	s_delay_alu instid0(VALU_DEP_1) | instskip(NEXT) | instid1(VALU_DEP_1)
	v_alignbit_b32 v13, v13, v13, 28
	v_add_nc_u32_e32 v13, v13, v15
	s_delay_alu instid0(VALU_DEP_1) | instskip(NEXT) | instid1(VALU_DEP_1)
	v_xor3_b32 v17, v15, v16, v13
	v_add3_u32 v14, v14, v17, 0xeaa127fa
	s_delay_alu instid0(VALU_DEP_1) | instskip(NEXT) | instid1(VALU_DEP_1)
	v_alignbit_b32 v14, v14, v14, 21
	v_add_nc_u32_e32 v14, v14, v13
	s_delay_alu instid0(VALU_DEP_1) | instskip(NEXT) | instid1(VALU_DEP_1)
	v_xor3_b32 v17, v13, v15, v14
	;; [unrolled: 6-line block ×4, first 2 shown]
	v_add3_u32 v13, v13, v17, 0xd9d4d039
	s_delay_alu instid0(VALU_DEP_1) | instskip(NEXT) | instid1(VALU_DEP_1)
	v_alignbit_b32 v13, v13, v13, 28
	v_add_nc_u32_e32 v13, v13, v15
	s_delay_alu instid0(VALU_DEP_1) | instskip(SKIP_1) | instid1(VALU_DEP_2)
	v_xor3_b32 v17, v15, v16, v13
	v_add_nc_u32_e32 v12, v12, v13
	v_add3_u32 v14, v14, v17, 0xe6db99e5
	s_delay_alu instid0(VALU_DEP_1) | instskip(NEXT) | instid1(VALU_DEP_1)
	v_alignbit_b32 v14, v14, v14, 21
	v_add_nc_u32_e32 v14, v14, v13
	s_delay_alu instid0(VALU_DEP_1) | instskip(NEXT) | instid1(VALU_DEP_1)
	v_xor3_b32 v17, v13, v15, v14
	v_add3_u32 v16, v16, v17, 0x1fa27cf8
	s_delay_alu instid0(VALU_DEP_1) | instskip(NEXT) | instid1(VALU_DEP_1)
	v_alignbit_b32 v16, v16, v16, 16
	v_add_nc_u32_e32 v16, v16, v14
	s_delay_alu instid0(VALU_DEP_1) | instskip(NEXT) | instid1(VALU_DEP_1)
	v_xor3_b32 v17, v14, v13, v16
	v_add3_u32 v15, v15, v17, 0xc4ac5665
	s_delay_alu instid0(VALU_DEP_1) | instskip(NEXT) | instid1(VALU_DEP_1)
	v_alignbit_b32 v15, v15, v15, 9
	v_add_nc_u32_e32 v15, v15, v16
	s_delay_alu instid0(VALU_DEP_1) | instskip(NEXT) | instid1(VALU_DEP_1)
	v_bitop3_b32 v13, v15, v16, v14 bitop3:0x39
	v_add3_u32 v12, v12, v13, 0xf4292244
	s_delay_alu instid0(VALU_DEP_1) | instskip(NEXT) | instid1(VALU_DEP_1)
	v_alignbit_b32 v12, v12, v12, 26
	v_add_nc_u32_e32 v12, v12, v15
	s_delay_alu instid0(VALU_DEP_1) | instskip(NEXT) | instid1(VALU_DEP_1)
	v_bitop3_b32 v13, v12, v15, v16 bitop3:0x39
	;; [unrolled: 6-line block ×4, first 2 shown]
	v_add3_u32 v15, v15, v16, 0xfc93a039
	s_delay_alu instid0(VALU_DEP_1) | instskip(NEXT) | instid1(VALU_DEP_1)
	v_alignbit_b32 v15, v15, v15, 11
	v_add_nc_u32_e32 v15, v15, v14
	s_delay_alu instid0(VALU_DEP_1) | instskip(SKIP_1) | instid1(VALU_DEP_2)
	v_bitop3_b32 v16, v15, v14, v13 bitop3:0x39
	v_add_nc_u32_e32 v2, v2, v15
	v_add3_u32 v12, v12, v16, 0x655b59c3
	s_delay_alu instid0(VALU_DEP_1) | instskip(NEXT) | instid1(VALU_DEP_1)
	v_alignbit_b32 v12, v12, v12, 26
	v_add_nc_u32_e32 v12, v12, v15
	s_delay_alu instid0(VALU_DEP_1) | instskip(NEXT) | instid1(VALU_DEP_1)
	v_bitop3_b32 v16, v12, v15, v14 bitop3:0x39
	v_add3_u32 v13, v13, v16, 0x8f0ccc92
	s_delay_alu instid0(VALU_DEP_1) | instskip(NEXT) | instid1(VALU_DEP_1)
	v_alignbit_b32 v13, v13, v13, 22
	v_add_nc_u32_e32 v13, v13, v12
	s_delay_alu instid0(VALU_DEP_1) | instskip(NEXT) | instid1(VALU_DEP_1)
	v_bitop3_b32 v16, v13, v12, v15 bitop3:0x39
	;; [unrolled: 6-line block ×10, first 2 shown]
	v_xad_u32 v14, v15, v12, v14
	s_delay_alu instid0(VALU_DEP_1) | instskip(NEXT) | instid1(VALU_DEP_1)
	v_add_nc_u32_e32 v14, 0x2ad7d2bb, v14
	v_alignbit_b32 v14, v14, v14, 17
	s_delay_alu instid0(VALU_DEP_1) | instskip(NEXT) | instid1(VALU_DEP_1)
	v_add_nc_u32_e32 v14, v14, v13
	v_bitop3_b32 v15, v14, v12, v14 bitop3:0xf3
	v_add_nc_u32_e32 v12, 0x67452301, v12
	s_delay_alu instid0(VALU_DEP_2) | instskip(SKIP_1) | instid1(VALU_DEP_3)
	v_xad_u32 v2, v15, v13, v2
	v_add_nc_u32_e32 v13, 0x10325476, v13
	v_cmp_eq_u32_e32 vcc_lo, s11, v12
	s_delay_alu instid0(VALU_DEP_3) | instskip(SKIP_1) | instid1(VALU_DEP_3)
	v_add_nc_u32_e32 v2, 0xeb86d391, v2
	s_wait_kmcnt 0x0
	v_cmp_eq_u32_e64 s2, s18, v13
	s_delay_alu instid0(VALU_DEP_2) | instskip(NEXT) | instid1(VALU_DEP_1)
	v_alignbit_b32 v2, v2, v2, 11
	v_add3_u32 v2, v14, v2, 0xefcdab89
	v_add_nc_u32_e32 v14, 0x98badcfe, v14
	s_delay_alu instid0(VALU_DEP_2) | instskip(NEXT) | instid1(VALU_DEP_2)
	v_cmp_eq_u32_e64 s0, s16, v2
	v_cmp_eq_u32_e64 s1, s17, v14
	s_and_b32 s0, vcc_lo, s0
	s_delay_alu instid0(SALU_CYCLE_1) | instskip(NEXT) | instid1(SALU_CYCLE_1)
	s_and_b32 s0, s0, s1
	s_and_b32 s1, s0, s2
	s_delay_alu instid0(SALU_CYCLE_1)
	s_and_saveexec_b32 s0, s1
	s_cbranch_execz .LBB0_2
; %bb.36:                               ;   in Loop: Header=BB0_4 Depth=1
	v_perm_b32 v2, v6, v0, 0x2010004
	v_dual_mov_b32 v12, s11 :: v_dual_mov_b32 v13, s16
	v_dual_mov_b32 v14, s17 :: v_dual_mov_b32 v15, s18
	s_clause 0x2
	global_store_b64 v1, v[2:3], s[14:15]
	global_store_b32 v1, v4, s[12:13]
	global_store_b128 v1, v[12:15], s[6:7]
	s_branch .LBB0_2
.LBB0_37:
	s_endpgm
	.section	.rodata,"a",@progbits
	.p2align	6, 0x0
	.amdhsa_kernel _Z14md5hash_kernelPiPhPjiiijjjj
		.amdhsa_group_segment_fixed_size 0
		.amdhsa_private_segment_fixed_size 0
		.amdhsa_kernarg_size 312
		.amdhsa_user_sgpr_count 2
		.amdhsa_user_sgpr_dispatch_ptr 0
		.amdhsa_user_sgpr_queue_ptr 0
		.amdhsa_user_sgpr_kernarg_segment_ptr 1
		.amdhsa_user_sgpr_dispatch_id 0
		.amdhsa_user_sgpr_kernarg_preload_length 0
		.amdhsa_user_sgpr_kernarg_preload_offset 0
		.amdhsa_user_sgpr_private_segment_size 0
		.amdhsa_wavefront_size32 1
		.amdhsa_uses_dynamic_stack 0
		.amdhsa_enable_private_segment 0
		.amdhsa_system_sgpr_workgroup_id_x 1
		.amdhsa_system_sgpr_workgroup_id_y 0
		.amdhsa_system_sgpr_workgroup_id_z 0
		.amdhsa_system_sgpr_workgroup_info 0
		.amdhsa_system_vgpr_workitem_id 0
		.amdhsa_next_free_vgpr 19
		.amdhsa_next_free_sgpr 24
		.amdhsa_named_barrier_count 0
		.amdhsa_reserve_vcc 1
		.amdhsa_float_round_mode_32 0
		.amdhsa_float_round_mode_16_64 0
		.amdhsa_float_denorm_mode_32 3
		.amdhsa_float_denorm_mode_16_64 3
		.amdhsa_fp16_overflow 0
		.amdhsa_memory_ordered 1
		.amdhsa_forward_progress 1
		.amdhsa_inst_pref_size 34
		.amdhsa_round_robin_scheduling 0
		.amdhsa_exception_fp_ieee_invalid_op 0
		.amdhsa_exception_fp_denorm_src 0
		.amdhsa_exception_fp_ieee_div_zero 0
		.amdhsa_exception_fp_ieee_overflow 0
		.amdhsa_exception_fp_ieee_underflow 0
		.amdhsa_exception_fp_ieee_inexact 0
		.amdhsa_exception_int_div_zero 0
	.end_amdhsa_kernel
	.text
.Lfunc_end0:
	.size	_Z14md5hash_kernelPiPhPjiiijjjj, .Lfunc_end0-_Z14md5hash_kernelPiPhPjiiijjjj
                                        ; -- End function
	.set _Z14md5hash_kernelPiPhPjiiijjjj.num_vgpr, 19
	.set _Z14md5hash_kernelPiPhPjiiijjjj.num_agpr, 0
	.set _Z14md5hash_kernelPiPhPjiiijjjj.numbered_sgpr, 24
	.set _Z14md5hash_kernelPiPhPjiiijjjj.num_named_barrier, 0
	.set _Z14md5hash_kernelPiPhPjiiijjjj.private_seg_size, 0
	.set _Z14md5hash_kernelPiPhPjiiijjjj.uses_vcc, 1
	.set _Z14md5hash_kernelPiPhPjiiijjjj.uses_flat_scratch, 0
	.set _Z14md5hash_kernelPiPhPjiiijjjj.has_dyn_sized_stack, 0
	.set _Z14md5hash_kernelPiPhPjiiijjjj.has_recursion, 0
	.set _Z14md5hash_kernelPiPhPjiiijjjj.has_indirect_call, 0
	.section	.AMDGPU.csdata,"",@progbits
; Kernel info:
; codeLenInByte = 4320
; TotalNumSgprs: 26
; NumVgprs: 19
; ScratchSize: 0
; MemoryBound: 0
; FloatMode: 240
; IeeeMode: 1
; LDSByteSize: 0 bytes/workgroup (compile time only)
; SGPRBlocks: 0
; VGPRBlocks: 1
; NumSGPRsForWavesPerEU: 26
; NumVGPRsForWavesPerEU: 19
; NamedBarCnt: 0
; Occupancy: 16
; WaveLimiterHint : 0
; COMPUTE_PGM_RSRC2:SCRATCH_EN: 0
; COMPUTE_PGM_RSRC2:USER_SGPR: 2
; COMPUTE_PGM_RSRC2:TRAP_HANDLER: 0
; COMPUTE_PGM_RSRC2:TGID_X_EN: 1
; COMPUTE_PGM_RSRC2:TGID_Y_EN: 0
; COMPUTE_PGM_RSRC2:TGID_Z_EN: 0
; COMPUTE_PGM_RSRC2:TIDIG_COMP_CNT: 0
	.text
	.p2alignl 7, 3214868480
	.fill 96, 4, 3214868480
	.section	.AMDGPU.gpr_maximums,"",@progbits
	.set amdgpu.max_num_vgpr, 0
	.set amdgpu.max_num_agpr, 0
	.set amdgpu.max_num_sgpr, 0
	.text
	.type	__hip_cuid_4cc8ad1ada0817dd,@object ; @__hip_cuid_4cc8ad1ada0817dd
	.section	.bss,"aw",@nobits
	.globl	__hip_cuid_4cc8ad1ada0817dd
__hip_cuid_4cc8ad1ada0817dd:
	.byte	0                               ; 0x0
	.size	__hip_cuid_4cc8ad1ada0817dd, 1

	.ident	"AMD clang version 22.0.0git (https://github.com/RadeonOpenCompute/llvm-project roc-7.2.4 26084 f58b06dce1f9c15707c5f808fd002e18c2accf7e)"
	.section	".note.GNU-stack","",@progbits
	.addrsig
	.addrsig_sym __hip_cuid_4cc8ad1ada0817dd
	.amdgpu_metadata
---
amdhsa.kernels:
  - .args:
      - .actual_access:  write_only
        .address_space:  global
        .offset:         0
        .size:           8
        .value_kind:     global_buffer
      - .actual_access:  write_only
        .address_space:  global
        .offset:         8
        .size:           8
        .value_kind:     global_buffer
      - .actual_access:  write_only
        .address_space:  global
        .offset:         16
        .size:           8
        .value_kind:     global_buffer
      - .offset:         24
        .size:           4
        .value_kind:     by_value
      - .offset:         28
        .size:           4
        .value_kind:     by_value
      - .offset:         32
        .size:           4
        .value_kind:     by_value
      - .offset:         36
        .size:           4
        .value_kind:     by_value
      - .offset:         40
        .size:           4
        .value_kind:     by_value
      - .offset:         44
        .size:           4
        .value_kind:     by_value
      - .offset:         48
        .size:           4
        .value_kind:     by_value
      - .offset:         56
        .size:           4
        .value_kind:     hidden_block_count_x
      - .offset:         60
        .size:           4
        .value_kind:     hidden_block_count_y
      - .offset:         64
        .size:           4
        .value_kind:     hidden_block_count_z
      - .offset:         68
        .size:           2
        .value_kind:     hidden_group_size_x
      - .offset:         70
        .size:           2
        .value_kind:     hidden_group_size_y
      - .offset:         72
        .size:           2
        .value_kind:     hidden_group_size_z
      - .offset:         74
        .size:           2
        .value_kind:     hidden_remainder_x
      - .offset:         76
        .size:           2
        .value_kind:     hidden_remainder_y
      - .offset:         78
        .size:           2
        .value_kind:     hidden_remainder_z
      - .offset:         96
        .size:           8
        .value_kind:     hidden_global_offset_x
      - .offset:         104
        .size:           8
        .value_kind:     hidden_global_offset_y
      - .offset:         112
        .size:           8
        .value_kind:     hidden_global_offset_z
      - .offset:         120
        .size:           2
        .value_kind:     hidden_grid_dims
    .group_segment_fixed_size: 0
    .kernarg_segment_align: 8
    .kernarg_segment_size: 312
    .language:       OpenCL C
    .language_version:
      - 2
      - 0
    .max_flat_workgroup_size: 1024
    .name:           _Z14md5hash_kernelPiPhPjiiijjjj
    .private_segment_fixed_size: 0
    .sgpr_count:     26
    .sgpr_spill_count: 0
    .symbol:         _Z14md5hash_kernelPiPhPjiiijjjj.kd
    .uniform_work_group_size: 1
    .uses_dynamic_stack: false
    .vgpr_count:     19
    .vgpr_spill_count: 0
    .wavefront_size: 32
amdhsa.target:   amdgcn-amd-amdhsa--gfx1250
amdhsa.version:
  - 1
  - 2
...

	.end_amdgpu_metadata
